;; amdgpu-corpus repo=ROCm/rocFFT kind=compiled arch=gfx1201 opt=O3
	.text
	.amdgcn_target "amdgcn-amd-amdhsa--gfx1201"
	.amdhsa_code_object_version 6
	.protected	fft_rtc_fwd_len1944_factors_3_3_3_3_8_3_wgs_243_tpt_243_halfLds_dp_ip_CI_unitstride_sbrr_C2R_dirReg ; -- Begin function fft_rtc_fwd_len1944_factors_3_3_3_3_8_3_wgs_243_tpt_243_halfLds_dp_ip_CI_unitstride_sbrr_C2R_dirReg
	.globl	fft_rtc_fwd_len1944_factors_3_3_3_3_8_3_wgs_243_tpt_243_halfLds_dp_ip_CI_unitstride_sbrr_C2R_dirReg
	.p2align	8
	.type	fft_rtc_fwd_len1944_factors_3_3_3_3_8_3_wgs_243_tpt_243_halfLds_dp_ip_CI_unitstride_sbrr_C2R_dirReg,@function
fft_rtc_fwd_len1944_factors_3_3_3_3_8_3_wgs_243_tpt_243_halfLds_dp_ip_CI_unitstride_sbrr_C2R_dirReg: ; @fft_rtc_fwd_len1944_factors_3_3_3_3_8_3_wgs_243_tpt_243_halfLds_dp_ip_CI_unitstride_sbrr_C2R_dirReg
; %bb.0:
	s_clause 0x2
	s_load_b128 s[4:7], s[0:1], 0x0
	s_load_b64 s[8:9], s[0:1], 0x50
	s_load_b64 s[10:11], s[0:1], 0x18
	v_mul_u32_u24_e32 v1, 0x10e, v0
	v_mov_b32_e32 v3, 0
	s_delay_alu instid0(VALU_DEP_2) | instskip(NEXT) | instid1(VALU_DEP_1)
	v_lshrrev_b32_e32 v1, 16, v1
	v_add_nc_u32_e32 v5, ttmp9, v1
	v_mov_b32_e32 v1, 0
	v_mov_b32_e32 v2, 0
	;; [unrolled: 1-line block ×3, first 2 shown]
	s_wait_kmcnt 0x0
	v_cmp_lt_u64_e64 s2, s[6:7], 2
	s_delay_alu instid0(VALU_DEP_1)
	s_and_b32 vcc_lo, exec_lo, s2
	s_cbranch_vccnz .LBB0_8
; %bb.1:
	s_load_b64 s[2:3], s[0:1], 0x10
	v_mov_b32_e32 v1, 0
	v_mov_b32_e32 v2, 0
	s_add_nc_u64 s[12:13], s[10:11], 8
	s_mov_b64 s[14:15], 1
	s_wait_kmcnt 0x0
	s_add_nc_u64 s[16:17], s[2:3], 8
	s_mov_b32 s3, 0
.LBB0_2:                                ; =>This Inner Loop Header: Depth=1
	s_load_b64 s[18:19], s[16:17], 0x0
                                        ; implicit-def: $vgpr7_vgpr8
	s_mov_b32 s2, exec_lo
	s_wait_kmcnt 0x0
	v_or_b32_e32 v4, s19, v6
	s_delay_alu instid0(VALU_DEP_1)
	v_cmpx_ne_u64_e32 0, v[3:4]
	s_wait_alu 0xfffe
	s_xor_b32 s20, exec_lo, s2
	s_cbranch_execz .LBB0_4
; %bb.3:                                ;   in Loop: Header=BB0_2 Depth=1
	s_cvt_f32_u32 s2, s18
	s_cvt_f32_u32 s21, s19
	s_sub_nc_u64 s[24:25], 0, s[18:19]
	s_wait_alu 0xfffe
	s_delay_alu instid0(SALU_CYCLE_1) | instskip(SKIP_1) | instid1(SALU_CYCLE_2)
	s_fmamk_f32 s2, s21, 0x4f800000, s2
	s_wait_alu 0xfffe
	v_s_rcp_f32 s2, s2
	s_delay_alu instid0(TRANS32_DEP_1) | instskip(SKIP_1) | instid1(SALU_CYCLE_2)
	s_mul_f32 s2, s2, 0x5f7ffffc
	s_wait_alu 0xfffe
	s_mul_f32 s21, s2, 0x2f800000
	s_wait_alu 0xfffe
	s_delay_alu instid0(SALU_CYCLE_2) | instskip(SKIP_1) | instid1(SALU_CYCLE_2)
	s_trunc_f32 s21, s21
	s_wait_alu 0xfffe
	s_fmamk_f32 s2, s21, 0xcf800000, s2
	s_cvt_u32_f32 s23, s21
	s_wait_alu 0xfffe
	s_delay_alu instid0(SALU_CYCLE_1) | instskip(SKIP_1) | instid1(SALU_CYCLE_2)
	s_cvt_u32_f32 s22, s2
	s_wait_alu 0xfffe
	s_mul_u64 s[26:27], s[24:25], s[22:23]
	s_wait_alu 0xfffe
	s_mul_hi_u32 s29, s22, s27
	s_mul_i32 s28, s22, s27
	s_mul_hi_u32 s2, s22, s26
	s_mul_i32 s30, s23, s26
	s_wait_alu 0xfffe
	s_add_nc_u64 s[28:29], s[2:3], s[28:29]
	s_mul_hi_u32 s21, s23, s26
	s_mul_hi_u32 s31, s23, s27
	s_add_co_u32 s2, s28, s30
	s_wait_alu 0xfffe
	s_add_co_ci_u32 s2, s29, s21
	s_mul_i32 s26, s23, s27
	s_add_co_ci_u32 s27, s31, 0
	s_wait_alu 0xfffe
	s_add_nc_u64 s[26:27], s[2:3], s[26:27]
	s_wait_alu 0xfffe
	v_add_co_u32 v4, s2, s22, s26
	s_delay_alu instid0(VALU_DEP_1) | instskip(SKIP_1) | instid1(VALU_DEP_1)
	s_cmp_lg_u32 s2, 0
	s_add_co_ci_u32 s23, s23, s27
	v_readfirstlane_b32 s22, v4
	s_wait_alu 0xfffe
	s_delay_alu instid0(VALU_DEP_1)
	s_mul_u64 s[24:25], s[24:25], s[22:23]
	s_wait_alu 0xfffe
	s_mul_hi_u32 s27, s22, s25
	s_mul_i32 s26, s22, s25
	s_mul_hi_u32 s2, s22, s24
	s_mul_i32 s28, s23, s24
	s_wait_alu 0xfffe
	s_add_nc_u64 s[26:27], s[2:3], s[26:27]
	s_mul_hi_u32 s21, s23, s24
	s_mul_hi_u32 s22, s23, s25
	s_wait_alu 0xfffe
	s_add_co_u32 s2, s26, s28
	s_add_co_ci_u32 s2, s27, s21
	s_mul_i32 s24, s23, s25
	s_add_co_ci_u32 s25, s22, 0
	s_wait_alu 0xfffe
	s_add_nc_u64 s[24:25], s[2:3], s[24:25]
	s_wait_alu 0xfffe
	v_add_co_u32 v4, s2, v4, s24
	s_delay_alu instid0(VALU_DEP_1) | instskip(SKIP_1) | instid1(VALU_DEP_1)
	s_cmp_lg_u32 s2, 0
	s_add_co_ci_u32 s2, s23, s25
	v_mul_hi_u32 v13, v5, v4
	s_wait_alu 0xfffe
	v_mad_co_u64_u32 v[7:8], null, v5, s2, 0
	v_mad_co_u64_u32 v[9:10], null, v6, v4, 0
	;; [unrolled: 1-line block ×3, first 2 shown]
	s_delay_alu instid0(VALU_DEP_3) | instskip(SKIP_1) | instid1(VALU_DEP_4)
	v_add_co_u32 v4, vcc_lo, v13, v7
	s_wait_alu 0xfffd
	v_add_co_ci_u32_e32 v7, vcc_lo, 0, v8, vcc_lo
	s_delay_alu instid0(VALU_DEP_2) | instskip(SKIP_1) | instid1(VALU_DEP_2)
	v_add_co_u32 v4, vcc_lo, v4, v9
	s_wait_alu 0xfffd
	v_add_co_ci_u32_e32 v4, vcc_lo, v7, v10, vcc_lo
	s_wait_alu 0xfffd
	v_add_co_ci_u32_e32 v7, vcc_lo, 0, v12, vcc_lo
	s_delay_alu instid0(VALU_DEP_2) | instskip(SKIP_1) | instid1(VALU_DEP_2)
	v_add_co_u32 v4, vcc_lo, v4, v11
	s_wait_alu 0xfffd
	v_add_co_ci_u32_e32 v9, vcc_lo, 0, v7, vcc_lo
	s_delay_alu instid0(VALU_DEP_2) | instskip(SKIP_1) | instid1(VALU_DEP_3)
	v_mul_lo_u32 v10, s19, v4
	v_mad_co_u64_u32 v[7:8], null, s18, v4, 0
	v_mul_lo_u32 v11, s18, v9
	s_delay_alu instid0(VALU_DEP_2) | instskip(NEXT) | instid1(VALU_DEP_2)
	v_sub_co_u32 v7, vcc_lo, v5, v7
	v_add3_u32 v8, v8, v11, v10
	s_delay_alu instid0(VALU_DEP_1) | instskip(SKIP_1) | instid1(VALU_DEP_1)
	v_sub_nc_u32_e32 v10, v6, v8
	s_wait_alu 0xfffd
	v_subrev_co_ci_u32_e64 v10, s2, s19, v10, vcc_lo
	v_add_co_u32 v11, s2, v4, 2
	s_wait_alu 0xf1ff
	v_add_co_ci_u32_e64 v12, s2, 0, v9, s2
	v_sub_co_u32 v13, s2, v7, s18
	v_sub_co_ci_u32_e32 v8, vcc_lo, v6, v8, vcc_lo
	s_wait_alu 0xf1ff
	v_subrev_co_ci_u32_e64 v10, s2, 0, v10, s2
	s_delay_alu instid0(VALU_DEP_3) | instskip(NEXT) | instid1(VALU_DEP_3)
	v_cmp_le_u32_e32 vcc_lo, s18, v13
	v_cmp_eq_u32_e64 s2, s19, v8
	s_wait_alu 0xfffd
	v_cndmask_b32_e64 v13, 0, -1, vcc_lo
	v_cmp_le_u32_e32 vcc_lo, s19, v10
	s_wait_alu 0xfffd
	v_cndmask_b32_e64 v14, 0, -1, vcc_lo
	v_cmp_le_u32_e32 vcc_lo, s18, v7
	;; [unrolled: 3-line block ×3, first 2 shown]
	s_wait_alu 0xfffd
	v_cndmask_b32_e64 v15, 0, -1, vcc_lo
	v_cmp_eq_u32_e32 vcc_lo, s19, v10
	s_wait_alu 0xf1ff
	s_delay_alu instid0(VALU_DEP_2)
	v_cndmask_b32_e64 v7, v15, v7, s2
	s_wait_alu 0xfffd
	v_cndmask_b32_e32 v10, v14, v13, vcc_lo
	v_add_co_u32 v13, vcc_lo, v4, 1
	s_wait_alu 0xfffd
	v_add_co_ci_u32_e32 v14, vcc_lo, 0, v9, vcc_lo
	s_delay_alu instid0(VALU_DEP_3) | instskip(SKIP_2) | instid1(VALU_DEP_3)
	v_cmp_ne_u32_e32 vcc_lo, 0, v10
	s_wait_alu 0xfffd
	v_cndmask_b32_e32 v10, v13, v11, vcc_lo
	v_cndmask_b32_e32 v8, v14, v12, vcc_lo
	v_cmp_ne_u32_e32 vcc_lo, 0, v7
	s_wait_alu 0xfffd
	s_delay_alu instid0(VALU_DEP_2)
	v_dual_cndmask_b32 v7, v4, v10 :: v_dual_cndmask_b32 v8, v9, v8
.LBB0_4:                                ;   in Loop: Header=BB0_2 Depth=1
	s_wait_alu 0xfffe
	s_and_not1_saveexec_b32 s2, s20
	s_cbranch_execz .LBB0_6
; %bb.5:                                ;   in Loop: Header=BB0_2 Depth=1
	v_cvt_f32_u32_e32 v4, s18
	s_sub_co_i32 s20, 0, s18
	s_delay_alu instid0(VALU_DEP_1) | instskip(NEXT) | instid1(TRANS32_DEP_1)
	v_rcp_iflag_f32_e32 v4, v4
	v_mul_f32_e32 v4, 0x4f7ffffe, v4
	s_delay_alu instid0(VALU_DEP_1) | instskip(SKIP_1) | instid1(VALU_DEP_1)
	v_cvt_u32_f32_e32 v4, v4
	s_wait_alu 0xfffe
	v_mul_lo_u32 v7, s20, v4
	s_delay_alu instid0(VALU_DEP_1) | instskip(NEXT) | instid1(VALU_DEP_1)
	v_mul_hi_u32 v7, v4, v7
	v_add_nc_u32_e32 v4, v4, v7
	s_delay_alu instid0(VALU_DEP_1) | instskip(NEXT) | instid1(VALU_DEP_1)
	v_mul_hi_u32 v4, v5, v4
	v_mul_lo_u32 v7, v4, s18
	v_add_nc_u32_e32 v8, 1, v4
	s_delay_alu instid0(VALU_DEP_2) | instskip(NEXT) | instid1(VALU_DEP_1)
	v_sub_nc_u32_e32 v7, v5, v7
	v_subrev_nc_u32_e32 v9, s18, v7
	v_cmp_le_u32_e32 vcc_lo, s18, v7
	s_wait_alu 0xfffd
	s_delay_alu instid0(VALU_DEP_2) | instskip(NEXT) | instid1(VALU_DEP_1)
	v_dual_cndmask_b32 v7, v7, v9 :: v_dual_cndmask_b32 v4, v4, v8
	v_cmp_le_u32_e32 vcc_lo, s18, v7
	s_delay_alu instid0(VALU_DEP_2) | instskip(SKIP_1) | instid1(VALU_DEP_1)
	v_add_nc_u32_e32 v8, 1, v4
	s_wait_alu 0xfffd
	v_dual_cndmask_b32 v7, v4, v8 :: v_dual_mov_b32 v8, v3
.LBB0_6:                                ;   in Loop: Header=BB0_2 Depth=1
	s_wait_alu 0xfffe
	s_or_b32 exec_lo, exec_lo, s2
	s_load_b64 s[20:21], s[12:13], 0x0
	s_delay_alu instid0(VALU_DEP_1)
	v_mul_lo_u32 v4, v8, s18
	v_mul_lo_u32 v11, v7, s19
	v_mad_co_u64_u32 v[9:10], null, v7, s18, 0
	s_add_nc_u64 s[14:15], s[14:15], 1
	s_add_nc_u64 s[12:13], s[12:13], 8
	s_wait_alu 0xfffe
	v_cmp_ge_u64_e64 s2, s[14:15], s[6:7]
	s_add_nc_u64 s[16:17], s[16:17], 8
	s_delay_alu instid0(VALU_DEP_2) | instskip(NEXT) | instid1(VALU_DEP_3)
	v_add3_u32 v4, v10, v11, v4
	v_sub_co_u32 v5, vcc_lo, v5, v9
	s_wait_alu 0xfffd
	s_delay_alu instid0(VALU_DEP_2) | instskip(SKIP_3) | instid1(VALU_DEP_2)
	v_sub_co_ci_u32_e32 v4, vcc_lo, v6, v4, vcc_lo
	s_and_b32 vcc_lo, exec_lo, s2
	s_wait_kmcnt 0x0
	v_mul_lo_u32 v6, s21, v5
	v_mul_lo_u32 v4, s20, v4
	v_mad_co_u64_u32 v[1:2], null, s20, v5, v[1:2]
	s_delay_alu instid0(VALU_DEP_1)
	v_add3_u32 v2, v6, v2, v4
	s_wait_alu 0xfffe
	s_cbranch_vccnz .LBB0_9
; %bb.7:                                ;   in Loop: Header=BB0_2 Depth=1
	v_dual_mov_b32 v5, v7 :: v_dual_mov_b32 v6, v8
	s_branch .LBB0_2
.LBB0_8:
	v_dual_mov_b32 v8, v6 :: v_dual_mov_b32 v7, v5
.LBB0_9:
	s_lshl_b64 s[2:3], s[6:7], 3
	v_mul_hi_u32 v5, 0x10db20b, v0
	s_wait_alu 0xfffe
	s_add_nc_u64 s[2:3], s[10:11], s[2:3]
	s_load_b64 s[2:3], s[2:3], 0x0
	s_load_b64 s[0:1], s[0:1], 0x20
	s_wait_kmcnt 0x0
	v_mul_lo_u32 v3, s2, v8
	v_mul_lo_u32 v4, s3, v7
	v_mad_co_u64_u32 v[1:2], null, s2, v7, v[1:2]
	v_cmp_gt_u64_e32 vcc_lo, s[0:1], v[7:8]
	s_delay_alu instid0(VALU_DEP_2) | instskip(SKIP_1) | instid1(VALU_DEP_2)
	v_add3_u32 v2, v4, v2, v3
	v_mul_u32_u24_e32 v3, 0xf3, v5
	v_lshlrev_b64_e32 v[38:39], 4, v[1:2]
	s_delay_alu instid0(VALU_DEP_2)
	v_sub_nc_u32_e32 v36, v0, v3
	s_and_saveexec_b32 s1, vcc_lo
	s_cbranch_execz .LBB0_13
; %bb.10:
	v_mov_b32_e32 v37, 0
	s_delay_alu instid0(VALU_DEP_3) | instskip(SKIP_2) | instid1(VALU_DEP_3)
	v_add_co_u32 v0, s0, s8, v38
	s_wait_alu 0xf1ff
	v_add_co_ci_u32_e64 v1, s0, s9, v39, s0
	v_lshlrev_b64_e32 v[2:3], 4, v[36:37]
	v_lshl_add_u32 v34, v36, 4, 0
	s_mov_b32 s2, exec_lo
	s_delay_alu instid0(VALU_DEP_2) | instskip(SKIP_1) | instid1(VALU_DEP_3)
	v_add_co_u32 v30, s0, v0, v2
	s_wait_alu 0xf1ff
	v_add_co_ci_u32_e64 v31, s0, v1, v3, s0
	s_clause 0x7
	global_load_b128 v[2:5], v[30:31], off
	global_load_b128 v[6:9], v[30:31], off offset:3888
	global_load_b128 v[10:13], v[30:31], off offset:7776
	;; [unrolled: 1-line block ×7, first 2 shown]
	s_wait_loadcnt 0x7
	ds_store_b128 v34, v[2:5]
	s_wait_loadcnt 0x6
	ds_store_b128 v34, v[6:9] offset:3888
	s_wait_loadcnt 0x5
	ds_store_b128 v34, v[10:13] offset:7776
	;; [unrolled: 2-line block ×7, first 2 shown]
	v_cmpx_eq_u32_e32 0xf2, v36
	s_cbranch_execz .LBB0_12
; %bb.11:
	global_load_b128 v[0:3], v[0:1], off offset:31104
	v_mov_b32_e32 v36, 0xf2
	s_wait_loadcnt 0x0
	ds_store_b128 v37, v[0:3] offset:31104
.LBB0_12:
	s_wait_alu 0xfffe
	s_or_b32 exec_lo, exec_lo, s2
.LBB0_13:
	s_wait_alu 0xfffe
	s_or_b32 exec_lo, exec_lo, s1
	v_lshlrev_b32_e32 v0, 4, v36
	global_wb scope:SCOPE_SE
	s_wait_dscnt 0x0
	s_barrier_signal -1
	s_barrier_wait -1
	global_inv scope:SCOPE_SE
	v_add_nc_u32_e32 v42, 0, v0
	v_sub_nc_u32_e32 v10, 0, v0
	s_mov_b32 s1, exec_lo
                                        ; implicit-def: $vgpr4_vgpr5
	ds_load_b64 v[6:7], v42
	ds_load_b64 v[8:9], v10 offset:31104
	s_wait_dscnt 0x0
	v_add_f64_e32 v[0:1], v[6:7], v[8:9]
	v_add_f64_e64 v[2:3], v[6:7], -v[8:9]
	v_cmpx_ne_u32_e32 0, v36
	s_wait_alu 0xfffe
	s_xor_b32 s1, exec_lo, s1
	s_cbranch_execz .LBB0_15
; %bb.14:
	v_mov_b32_e32 v37, 0
	v_add_f64_e32 v[13:14], v[6:7], v[8:9]
	v_add_f64_e64 v[15:16], v[6:7], -v[8:9]
	s_delay_alu instid0(VALU_DEP_3) | instskip(NEXT) | instid1(VALU_DEP_1)
	v_lshlrev_b64_e32 v[0:1], 4, v[36:37]
	v_add_co_u32 v0, s0, s4, v0
	s_wait_alu 0xf1ff
	s_delay_alu instid0(VALU_DEP_2)
	v_add_co_ci_u32_e64 v1, s0, s5, v1, s0
	global_load_b128 v[2:5], v[0:1], off offset:31056
	ds_load_b64 v[0:1], v10 offset:31112
	ds_load_b64 v[11:12], v42 offset:8
	s_wait_dscnt 0x0
	v_add_f64_e32 v[6:7], v[0:1], v[11:12]
	v_add_f64_e64 v[0:1], v[11:12], -v[0:1]
	s_wait_loadcnt 0x0
	v_fma_f64 v[8:9], v[15:16], v[4:5], v[13:14]
	v_fma_f64 v[11:12], -v[15:16], v[4:5], v[13:14]
	s_delay_alu instid0(VALU_DEP_3) | instskip(SKIP_1) | instid1(VALU_DEP_4)
	v_fma_f64 v[13:14], v[6:7], v[4:5], -v[0:1]
	v_fma_f64 v[4:5], v[6:7], v[4:5], v[0:1]
	v_fma_f64 v[0:1], -v[6:7], v[2:3], v[8:9]
	s_delay_alu instid0(VALU_DEP_4) | instskip(NEXT) | instid1(VALU_DEP_4)
	v_fma_f64 v[6:7], v[6:7], v[2:3], v[11:12]
	v_fma_f64 v[8:9], v[15:16], v[2:3], v[13:14]
	s_delay_alu instid0(VALU_DEP_4)
	v_fma_f64 v[2:3], v[15:16], v[2:3], v[4:5]
	v_dual_mov_b32 v4, v36 :: v_dual_mov_b32 v5, v37
	ds_store_b128 v10, v[6:9] offset:31104
.LBB0_15:
	s_wait_alu 0xfffe
	s_and_not1_saveexec_b32 s0, s1
	s_cbranch_execz .LBB0_17
; %bb.16:
	v_mov_b32_e32 v8, 0
	ds_load_b128 v[4:7], v8 offset:15552
	s_wait_dscnt 0x0
	v_add_f64_e32 v[11:12], v[4:5], v[4:5]
	v_mul_f64_e32 v[13:14], -2.0, v[6:7]
	v_mov_b32_e32 v4, 0
	v_mov_b32_e32 v5, 0
	ds_store_b128 v8, v[11:14] offset:15552
.LBB0_17:
	s_wait_alu 0xfffe
	s_or_b32 exec_lo, exec_lo, s0
	v_lshlrev_b64_e32 v[4:5], 4, v[4:5]
	s_add_nc_u64 s[0:1], s[4:5], 0x7950
	s_mov_b32 s3, 0xbfebb67a
	s_wait_alu 0xfffe
	s_delay_alu instid0(VALU_DEP_1)
	v_add_co_u32 v8, s0, s0, v4
	s_wait_alu 0xf1ff
	v_add_co_ci_u32_e64 v9, s0, s1, v5, s0
	s_mov_b32 s0, 0xe8584caa
	s_mov_b32 s1, 0x3febb67a
	s_wait_alu 0xfffe
	s_mov_b32 s2, s0
	s_clause 0x1
	global_load_b128 v[4:7], v[8:9], off offset:3888
	global_load_b128 v[11:14], v[8:9], off offset:7776
	ds_store_b128 v42, v[0:3]
	ds_load_b128 v[0:3], v42 offset:3888
	ds_load_b128 v[15:18], v10 offset:27216
	global_load_b128 v[19:22], v[8:9], off offset:11664
	s_wait_dscnt 0x0
	v_add_f64_e32 v[8:9], v[0:1], v[15:16]
	v_add_f64_e32 v[23:24], v[17:18], v[2:3]
	v_add_f64_e64 v[15:16], v[0:1], -v[15:16]
	v_add_f64_e64 v[0:1], v[2:3], -v[17:18]
	s_wait_loadcnt 0x2
	s_delay_alu instid0(VALU_DEP_2) | instskip(NEXT) | instid1(VALU_DEP_2)
	v_fma_f64 v[2:3], v[15:16], v[6:7], v[8:9]
	v_fma_f64 v[17:18], v[23:24], v[6:7], v[0:1]
	v_fma_f64 v[8:9], -v[15:16], v[6:7], v[8:9]
	v_fma_f64 v[25:26], v[23:24], v[6:7], -v[0:1]
	s_delay_alu instid0(VALU_DEP_4) | instskip(NEXT) | instid1(VALU_DEP_4)
	v_fma_f64 v[0:1], -v[23:24], v[4:5], v[2:3]
	v_fma_f64 v[2:3], v[15:16], v[4:5], v[17:18]
	s_delay_alu instid0(VALU_DEP_4) | instskip(NEXT) | instid1(VALU_DEP_4)
	v_fma_f64 v[6:7], v[23:24], v[4:5], v[8:9]
	v_fma_f64 v[8:9], v[15:16], v[4:5], v[25:26]
	ds_store_b128 v42, v[0:3] offset:3888
	ds_store_b128 v10, v[6:9] offset:27216
	ds_load_b128 v[0:3], v42 offset:7776
	ds_load_b128 v[4:7], v10 offset:23328
	s_wait_dscnt 0x0
	v_add_f64_e32 v[8:9], v[0:1], v[4:5]
	v_add_f64_e32 v[15:16], v[6:7], v[2:3]
	v_add_f64_e64 v[17:18], v[0:1], -v[4:5]
	v_add_f64_e64 v[0:1], v[2:3], -v[6:7]
	s_wait_loadcnt 0x1
	s_delay_alu instid0(VALU_DEP_2) | instskip(NEXT) | instid1(VALU_DEP_2)
	v_fma_f64 v[2:3], v[17:18], v[13:14], v[8:9]
	v_fma_f64 v[4:5], v[15:16], v[13:14], v[0:1]
	v_fma_f64 v[6:7], -v[17:18], v[13:14], v[8:9]
	v_fma_f64 v[8:9], v[15:16], v[13:14], -v[0:1]
	s_delay_alu instid0(VALU_DEP_4) | instskip(NEXT) | instid1(VALU_DEP_4)
	v_fma_f64 v[0:1], -v[15:16], v[11:12], v[2:3]
	v_fma_f64 v[2:3], v[17:18], v[11:12], v[4:5]
	s_delay_alu instid0(VALU_DEP_4) | instskip(NEXT) | instid1(VALU_DEP_4)
	v_fma_f64 v[4:5], v[15:16], v[11:12], v[6:7]
	v_fma_f64 v[6:7], v[17:18], v[11:12], v[8:9]
	ds_store_b128 v42, v[0:3] offset:7776
	ds_store_b128 v10, v[4:7] offset:23328
	ds_load_b128 v[0:3], v42 offset:11664
	ds_load_b128 v[4:7], v10 offset:19440
	s_wait_dscnt 0x0
	v_add_f64_e32 v[8:9], v[0:1], v[4:5]
	v_add_f64_e32 v[11:12], v[6:7], v[2:3]
	v_add_f64_e64 v[13:14], v[0:1], -v[4:5]
	v_add_f64_e64 v[0:1], v[2:3], -v[6:7]
	s_wait_loadcnt 0x0
	s_delay_alu instid0(VALU_DEP_2) | instskip(NEXT) | instid1(VALU_DEP_2)
	v_fma_f64 v[2:3], v[13:14], v[21:22], v[8:9]
	v_fma_f64 v[4:5], v[11:12], v[21:22], v[0:1]
	v_fma_f64 v[6:7], -v[13:14], v[21:22], v[8:9]
	v_fma_f64 v[8:9], v[11:12], v[21:22], -v[0:1]
	s_delay_alu instid0(VALU_DEP_4) | instskip(NEXT) | instid1(VALU_DEP_4)
	v_fma_f64 v[0:1], -v[11:12], v[19:20], v[2:3]
	v_fma_f64 v[2:3], v[13:14], v[19:20], v[4:5]
	s_delay_alu instid0(VALU_DEP_4) | instskip(NEXT) | instid1(VALU_DEP_4)
	v_fma_f64 v[4:5], v[11:12], v[19:20], v[6:7]
	v_fma_f64 v[6:7], v[13:14], v[19:20], v[8:9]
	ds_store_b128 v42, v[0:3] offset:11664
	ds_store_b128 v10, v[4:7] offset:19440
	global_wb scope:SCOPE_SE
	s_wait_dscnt 0x0
	s_barrier_signal -1
	s_barrier_wait -1
	global_inv scope:SCOPE_SE
	global_wb scope:SCOPE_SE
	s_barrier_signal -1
	s_barrier_wait -1
	global_inv scope:SCOPE_SE
	ds_load_b128 v[0:3], v42 offset:10368
	ds_load_b128 v[4:7], v42 offset:20736
	;; [unrolled: 1-line block ×7, first 2 shown]
	ds_load_b128 v[28:31], v42
	ds_load_b128 v[32:35], v42 offset:3888
	global_wb scope:SCOPE_SE
	s_wait_dscnt 0x0
	s_barrier_signal -1
	s_barrier_wait -1
	global_inv scope:SCOPE_SE
	v_add_f64_e32 v[43:44], v[2:3], v[6:7]
	v_add_f64_e32 v[40:41], v[0:1], v[4:5]
	;; [unrolled: 1-line block ×7, first 2 shown]
	v_add_f64_e64 v[55:56], v[2:3], -v[6:7]
	v_add_f64_e32 v[2:3], v[30:31], v[2:3]
	v_add_f64_e32 v[57:58], v[32:33], v[12:13]
	;; [unrolled: 1-line block ×5, first 2 shown]
	v_add_f64_e64 v[14:15], v[14:15], -v[10:11]
	v_add_f64_e64 v[12:13], v[12:13], -v[8:9]
	;; [unrolled: 1-line block ×3, first 2 shown]
	v_fma_f64 v[30:31], v[43:44], -0.5, v[30:31]
	v_fma_f64 v[28:29], v[40:41], -0.5, v[28:29]
	;; [unrolled: 1-line block ×5, first 2 shown]
	v_add_f64_e64 v[49:50], v[16:17], -v[20:21]
	v_fma_f64 v[51:52], v[51:52], -0.5, v[26:27]
	v_add_f64_e64 v[40:41], v[0:1], -v[4:5]
	v_add_f64_e32 v[24:25], v[53:54], v[4:5]
	v_add_f64_e32 v[26:27], v[2:3], v[6:7]
	;; [unrolled: 1-line block ×6, first 2 shown]
	v_lshlrev_b32_e32 v4, 5, v36
	s_delay_alu instid0(VALU_DEP_1)
	v_add_nc_u32_e32 v4, v42, v4
	v_fma_f64 v[20:21], v[55:56], s[0:1], v[28:29]
	v_fma_f64 v[32:33], v[14:15], s[0:1], v[43:44]
	s_wait_alu 0xfffe
	v_fma_f64 v[43:44], v[14:15], s[2:3], v[43:44]
	v_fma_f64 v[34:35], v[12:13], s[2:3], v[45:46]
	;; [unrolled: 1-line block ×10, first 2 shown]
	v_cmp_gt_u32_e64 s0, 0xa2, v36
	ds_store_b128 v4, v[24:27]
	ds_store_b128 v4, v[20:23] offset:16
	ds_store_b128 v4, v[28:31] offset:32
	;; [unrolled: 1-line block ×5, first 2 shown]
	s_and_saveexec_b32 s1, s0
	s_cbranch_execz .LBB0_19
; %bb.18:
	ds_store_b128 v4, v[0:3] offset:23328
	ds_store_b128 v4, v[12:15] offset:23344
	;; [unrolled: 1-line block ×3, first 2 shown]
.LBB0_19:
	s_wait_alu 0xfffe
	s_or_b32 exec_lo, exec_lo, s1
	global_wb scope:SCOPE_SE
	s_wait_dscnt 0x0
	s_barrier_signal -1
	s_barrier_wait -1
	global_inv scope:SCOPE_SE
	ds_load_b128 v[8:11], v42
	ds_load_b128 v[4:7], v42 offset:3888
	ds_load_b128 v[32:35], v42 offset:10368
	;; [unrolled: 1-line block ×5, first 2 shown]
	s_and_saveexec_b32 s1, s0
	s_cbranch_execz .LBB0_21
; %bb.20:
	ds_load_b128 v[0:3], v42 offset:7776
	ds_load_b128 v[12:15], v42 offset:18144
	ds_load_b128 v[16:19], v42 offset:28512
.LBB0_21:
	s_wait_alu 0xfffe
	s_or_b32 exec_lo, exec_lo, s1
	v_and_b32_e32 v40, 0xff, v36
	v_add_nc_u32_e32 v43, 0xf3, v36
	s_mov_b32 s2, 0xe8584caa
	s_mov_b32 s3, 0x3febb67a
	;; [unrolled: 1-line block ×3, first 2 shown]
	v_mul_lo_u16 v37, 0xab, v40
	v_and_b32_e32 v44, 0xffff, v43
	s_wait_alu 0xfffe
	s_mov_b32 s6, s2
	s_delay_alu instid0(VALU_DEP_2) | instskip(NEXT) | instid1(VALU_DEP_2)
	v_lshrrev_b16 v81, 9, v37
	v_mul_u32_u24_e32 v45, 0xaaab, v44
	s_delay_alu instid0(VALU_DEP_2) | instskip(NEXT) | instid1(VALU_DEP_2)
	v_mul_lo_u16 v37, v81, 3
	v_lshrrev_b32_e32 v83, 17, v45
	s_delay_alu instid0(VALU_DEP_2) | instskip(NEXT) | instid1(VALU_DEP_1)
	v_sub_nc_u16 v37, v36, v37
	v_and_b32_e32 v82, 0xff, v37
	v_add_nc_u32_e32 v37, 0x1e6, v36
	s_delay_alu instid0(VALU_DEP_2) | instskip(NEXT) | instid1(VALU_DEP_2)
	v_lshlrev_b32_e32 v51, 5, v82
	v_and_b32_e32 v41, 0xffff, v37
	global_load_b128 v[47:50], v51, s[4:5]
	v_mul_u32_u24_e32 v46, 0xaaab, v41
	s_delay_alu instid0(VALU_DEP_1) | instskip(SKIP_1) | instid1(VALU_DEP_2)
	v_lshrrev_b32_e32 v45, 17, v46
	v_mul_lo_u16 v46, v83, 3
	v_mul_lo_u16 v52, v45, 3
	s_delay_alu instid0(VALU_DEP_2) | instskip(NEXT) | instid1(VALU_DEP_2)
	v_sub_nc_u16 v46, v43, v46
	v_sub_nc_u16 v52, v37, v52
	s_delay_alu instid0(VALU_DEP_2) | instskip(NEXT) | instid1(VALU_DEP_2)
	v_and_b32_e32 v84, 0xffff, v46
	v_and_b32_e32 v46, 0xffff, v52
	s_delay_alu instid0(VALU_DEP_2)
	v_lshlrev_b32_e32 v59, 5, v84
	global_load_b128 v[51:54], v51, s[4:5] offset:16
	v_lshlrev_b32_e32 v67, 5, v46
	s_clause 0x3
	global_load_b128 v[55:58], v59, s[4:5]
	global_load_b128 v[59:62], v59, s[4:5] offset:16
	global_load_b128 v[63:66], v67, s[4:5]
	global_load_b128 v[67:70], v67, s[4:5] offset:16
	global_wb scope:SCOPE_SE
	s_wait_loadcnt_dscnt 0x0
	s_barrier_signal -1
	s_barrier_wait -1
	global_inv scope:SCOPE_SE
	v_mul_f64_e32 v[71:72], v[34:35], v[49:50]
	v_mul_f64_e32 v[49:50], v[32:33], v[49:50]
	;; [unrolled: 1-line block ×9, first 2 shown]
	v_fma_f64 v[32:33], v[32:33], v[47:48], -v[71:72]
	v_fma_f64 v[34:35], v[34:35], v[47:48], v[49:50]
	v_mul_f64_e32 v[47:48], v[18:19], v[69:70]
	v_mul_f64_e32 v[49:50], v[12:13], v[65:66]
	;; [unrolled: 1-line block ×3, first 2 shown]
	v_fma_f64 v[28:29], v[28:29], v[51:52], -v[73:74]
	v_fma_f64 v[30:31], v[30:31], v[51:52], v[53:54]
	v_fma_f64 v[20:21], v[20:21], v[55:56], -v[75:76]
	v_fma_f64 v[22:23], v[22:23], v[55:56], v[57:58]
	;; [unrolled: 2-line block ×3, first 2 shown]
	v_fma_f64 v[12:13], v[12:13], v[63:64], -v[79:80]
	v_add_f64_e32 v[59:60], v[8:9], v[32:33]
	v_fma_f64 v[16:17], v[16:17], v[67:68], -v[47:48]
	v_fma_f64 v[14:15], v[14:15], v[63:64], v[49:50]
	v_fma_f64 v[18:19], v[18:19], v[67:68], v[65:66]
	v_add_f64_e32 v[47:48], v[32:33], v[28:29]
	v_add_f64_e32 v[49:50], v[34:35], v[30:31]
	v_add_f64_e64 v[61:62], v[34:35], -v[30:31]
	v_add_f64_e32 v[34:35], v[10:11], v[34:35]
	v_add_f64_e32 v[63:64], v[4:5], v[20:21]
	;; [unrolled: 1-line block ×6, first 2 shown]
	v_add_f64_e64 v[32:33], v[32:33], -v[28:29]
	v_add_f64_e64 v[71:72], v[22:23], -v[26:27]
	v_add_f64_e32 v[55:56], v[12:13], v[16:17]
	v_add_f64_e32 v[69:70], v[2:3], v[14:15]
	;; [unrolled: 1-line block ×3, first 2 shown]
	v_add_f64_e64 v[73:74], v[12:13], -v[16:17]
	v_fma_f64 v[47:48], v[47:48], -0.5, v[8:9]
	v_fma_f64 v[49:50], v[49:50], -0.5, v[10:11]
	v_add_f64_e32 v[8:9], v[59:60], v[28:29]
	v_add_f64_e32 v[10:11], v[34:35], v[30:31]
	v_add_f64_e32 v[12:13], v[63:64], v[24:25]
	v_fma_f64 v[4:5], v[51:52], -0.5, v[4:5]
	v_add_f64_e64 v[51:52], v[20:21], -v[24:25]
	v_fma_f64 v[6:7], v[53:54], -0.5, v[6:7]
	v_add_f64_e64 v[53:54], v[14:15], -v[18:19]
	v_add_f64_e32 v[14:15], v[65:66], v[26:27]
	v_fma_f64 v[55:56], v[55:56], -0.5, v[0:1]
	v_add_f64_e32 v[0:1], v[67:68], v[16:17]
	v_fma_f64 v[57:58], v[57:58], -0.5, v[2:3]
	v_add_f64_e32 v[2:3], v[69:70], v[18:19]
	v_fma_f64 v[20:21], v[61:62], s[2:3], v[47:48]
	s_wait_alu 0xfffe
	v_fma_f64 v[22:23], v[32:33], s[6:7], v[49:50]
	v_fma_f64 v[26:27], v[32:33], s[2:3], v[49:50]
	;; [unrolled: 1-line block ×3, first 2 shown]
	v_and_b32_e32 v47, 0xffff, v81
	v_fma_f64 v[28:29], v[71:72], s[2:3], v[4:5]
	v_fma_f64 v[32:33], v[71:72], s[6:7], v[4:5]
	;; [unrolled: 1-line block ×4, first 2 shown]
	v_mul_u32_u24_e32 v47, 0x90, v47
	v_lshlrev_b32_e32 v48, 4, v82
	v_mul_u32_u24_e32 v49, 0x90, v83
	v_lshlrev_b32_e32 v50, 4, v84
	s_delay_alu instid0(VALU_DEP_3)
	v_add3_u32 v47, 0, v47, v48
	v_fma_f64 v[4:5], v[53:54], s[2:3], v[55:56]
	v_fma_f64 v[16:17], v[53:54], s[6:7], v[55:56]
	;; [unrolled: 1-line block ×4, first 2 shown]
	v_add3_u32 v48, 0, v49, v50
	ds_store_b128 v47, v[8:11]
	ds_store_b128 v47, v[20:23] offset:48
	ds_store_b128 v47, v[24:27] offset:96
	ds_store_b128 v48, v[12:15]
	ds_store_b128 v48, v[28:31] offset:48
	ds_store_b128 v48, v[32:35] offset:96
	s_and_saveexec_b32 s1, s0
	s_cbranch_execz .LBB0_23
; %bb.22:
	v_mul_lo_u16 v8, v45, 9
	v_lshlrev_b32_e32 v9, 4, v46
	s_delay_alu instid0(VALU_DEP_2) | instskip(NEXT) | instid1(VALU_DEP_1)
	v_and_b32_e32 v8, 0xffff, v8
	v_lshlrev_b32_e32 v8, 4, v8
	s_delay_alu instid0(VALU_DEP_1)
	v_add3_u32 v8, 0, v9, v8
	ds_store_b128 v8, v[0:3]
	ds_store_b128 v8, v[4:7] offset:48
	ds_store_b128 v8, v[16:19] offset:96
.LBB0_23:
	s_wait_alu 0xfffe
	s_or_b32 exec_lo, exec_lo, s1
	global_wb scope:SCOPE_SE
	s_wait_dscnt 0x0
	s_barrier_signal -1
	s_barrier_wait -1
	global_inv scope:SCOPE_SE
	ds_load_b128 v[12:15], v42
	ds_load_b128 v[8:11], v42 offset:3888
	ds_load_b128 v[32:35], v42 offset:10368
	;; [unrolled: 1-line block ×5, first 2 shown]
	s_and_saveexec_b32 s1, s0
	s_cbranch_execz .LBB0_25
; %bb.24:
	ds_load_b128 v[0:3], v42 offset:7776
	ds_load_b128 v[4:7], v42 offset:18144
	;; [unrolled: 1-line block ×3, first 2 shown]
.LBB0_25:
	s_wait_alu 0xfffe
	s_or_b32 exec_lo, exec_lo, s1
	v_mul_lo_u16 v45, v40, 57
	v_mul_u32_u24_e32 v46, 0xe38f, v41
	s_mov_b32 s6, s2
	s_delay_alu instid0(VALU_DEP_2) | instskip(NEXT) | instid1(VALU_DEP_1)
	v_lshrrev_b16 v81, 9, v45
	v_mul_lo_u16 v45, v81, 9
	s_delay_alu instid0(VALU_DEP_1) | instskip(NEXT) | instid1(VALU_DEP_1)
	v_sub_nc_u16 v45, v36, v45
	v_and_b32_e32 v82, 0xff, v45
	v_mul_u32_u24_e32 v45, 0xe38f, v44
	s_delay_alu instid0(VALU_DEP_2) | instskip(NEXT) | instid1(VALU_DEP_2)
	v_lshlrev_b32_e32 v51, 5, v82
	v_lshrrev_b32_e32 v83, 19, v45
	v_lshrrev_b32_e32 v45, 19, v46
	global_load_b128 v[47:50], v51, s[4:5] offset:96
	v_mul_lo_u16 v46, v83, 9
	v_mul_lo_u16 v52, v45, 9
	s_delay_alu instid0(VALU_DEP_2) | instskip(NEXT) | instid1(VALU_DEP_2)
	v_sub_nc_u16 v46, v43, v46
	v_sub_nc_u16 v52, v37, v52
	s_delay_alu instid0(VALU_DEP_2) | instskip(NEXT) | instid1(VALU_DEP_2)
	v_and_b32_e32 v84, 0xffff, v46
	v_and_b32_e32 v46, 0xffff, v52
	global_load_b128 v[51:54], v51, s[4:5] offset:112
	v_lshlrev_b32_e32 v59, 5, v84
	v_lshlrev_b32_e32 v67, 5, v46
	s_clause 0x3
	global_load_b128 v[55:58], v59, s[4:5] offset:96
	global_load_b128 v[59:62], v59, s[4:5] offset:112
	;; [unrolled: 1-line block ×4, first 2 shown]
	global_wb scope:SCOPE_SE
	s_wait_loadcnt_dscnt 0x0
	s_barrier_signal -1
	s_barrier_wait -1
	global_inv scope:SCOPE_SE
	v_mul_f64_e32 v[71:72], v[34:35], v[49:50]
	v_mul_f64_e32 v[49:50], v[32:33], v[49:50]
	;; [unrolled: 1-line block ×9, first 2 shown]
	v_fma_f64 v[32:33], v[32:33], v[47:48], -v[71:72]
	v_fma_f64 v[34:35], v[34:35], v[47:48], v[49:50]
	v_mul_f64_e32 v[47:48], v[18:19], v[69:70]
	v_mul_f64_e32 v[49:50], v[4:5], v[65:66]
	;; [unrolled: 1-line block ×3, first 2 shown]
	v_fma_f64 v[28:29], v[28:29], v[51:52], -v[73:74]
	v_fma_f64 v[30:31], v[30:31], v[51:52], v[53:54]
	v_fma_f64 v[20:21], v[20:21], v[55:56], -v[75:76]
	v_fma_f64 v[22:23], v[22:23], v[55:56], v[57:58]
	v_fma_f64 v[4:5], v[4:5], v[63:64], -v[79:80]
	v_fma_f64 v[24:25], v[24:25], v[59:60], -v[77:78]
	v_fma_f64 v[26:27], v[26:27], v[59:60], v[61:62]
	v_add_f64_e32 v[59:60], v[12:13], v[32:33]
	v_fma_f64 v[16:17], v[16:17], v[67:68], -v[47:48]
	v_fma_f64 v[6:7], v[6:7], v[63:64], v[49:50]
	v_fma_f64 v[18:19], v[18:19], v[67:68], v[65:66]
	v_add_f64_e32 v[47:48], v[32:33], v[28:29]
	v_add_f64_e32 v[49:50], v[34:35], v[30:31]
	v_add_f64_e64 v[61:62], v[34:35], -v[30:31]
	v_add_f64_e32 v[34:35], v[14:15], v[34:35]
	v_add_f64_e64 v[32:33], v[32:33], -v[28:29]
	v_add_f64_e32 v[63:64], v[8:9], v[20:21]
	v_add_f64_e32 v[65:66], v[10:11], v[22:23]
	;; [unrolled: 1-line block ×5, first 2 shown]
	v_add_f64_e64 v[71:72], v[22:23], -v[26:27]
	v_add_f64_e64 v[73:74], v[20:21], -v[24:25]
	v_add_f64_e32 v[55:56], v[4:5], v[16:17]
	v_add_f64_e32 v[69:70], v[2:3], v[6:7]
	;; [unrolled: 1-line block ×3, first 2 shown]
	v_add_f64_e64 v[75:76], v[6:7], -v[18:19]
	v_add_f64_e64 v[77:78], v[4:5], -v[16:17]
	v_fma_f64 v[47:48], v[47:48], -0.5, v[12:13]
	v_fma_f64 v[49:50], v[49:50], -0.5, v[14:15]
	v_add_f64_e32 v[12:13], v[63:64], v[24:25]
	v_add_f64_e32 v[14:15], v[65:66], v[26:27]
	;; [unrolled: 1-line block ×3, first 2 shown]
	v_fma_f64 v[51:52], v[51:52], -0.5, v[8:9]
	v_fma_f64 v[53:54], v[53:54], -0.5, v[10:11]
	v_add_f64_e32 v[8:9], v[59:60], v[28:29]
	v_add_f64_e32 v[10:11], v[34:35], v[30:31]
	v_fma_f64 v[55:56], v[55:56], -0.5, v[0:1]
	v_add_f64_e32 v[6:7], v[69:70], v[18:19]
	v_fma_f64 v[57:58], v[57:58], -0.5, v[2:3]
	v_fma_f64 v[20:21], v[61:62], s[2:3], v[47:48]
	s_wait_alu 0xfffe
	v_fma_f64 v[22:23], v[32:33], s[6:7], v[49:50]
	v_fma_f64 v[24:25], v[61:62], s[6:7], v[47:48]
	;; [unrolled: 1-line block ×3, first 2 shown]
	v_and_b32_e32 v47, 0xffff, v81
	v_lshlrev_b32_e32 v48, 4, v82
	v_mul_u32_u24_e32 v49, 0x1b0, v83
	v_lshlrev_b32_e32 v50, 4, v84
	v_fma_f64 v[28:29], v[71:72], s[2:3], v[51:52]
	v_fma_f64 v[30:31], v[73:74], s[6:7], v[53:54]
	;; [unrolled: 1-line block ×4, first 2 shown]
	v_mul_u32_u24_e32 v47, 0x1b0, v47
	s_delay_alu instid0(VALU_DEP_1)
	v_add3_u32 v47, 0, v47, v48
	v_add3_u32 v48, 0, v49, v50
	ds_store_b128 v47, v[8:11]
	ds_store_b128 v47, v[20:23] offset:144
	ds_store_b128 v47, v[24:27] offset:288
	ds_store_b128 v48, v[12:15]
	ds_store_b128 v48, v[28:31] offset:144
	ds_store_b128 v48, v[32:35] offset:288
	v_fma_f64 v[0:1], v[75:76], s[2:3], v[55:56]
	v_fma_f64 v[16:17], v[75:76], s[6:7], v[55:56]
	;; [unrolled: 1-line block ×4, first 2 shown]
	s_and_saveexec_b32 s1, s0
	s_cbranch_execz .LBB0_27
; %bb.26:
	v_mul_lo_u16 v8, v45, 27
	v_lshlrev_b32_e32 v9, 4, v46
	s_delay_alu instid0(VALU_DEP_2) | instskip(NEXT) | instid1(VALU_DEP_1)
	v_and_b32_e32 v8, 0xffff, v8
	v_lshlrev_b32_e32 v8, 4, v8
	s_delay_alu instid0(VALU_DEP_1)
	v_add3_u32 v8, 0, v9, v8
	ds_store_b128 v8, v[4:7]
	ds_store_b128 v8, v[0:3] offset:144
	ds_store_b128 v8, v[16:19] offset:288
.LBB0_27:
	s_wait_alu 0xfffe
	s_or_b32 exec_lo, exec_lo, s1
	global_wb scope:SCOPE_SE
	s_wait_dscnt 0x0
	s_barrier_signal -1
	s_barrier_wait -1
	global_inv scope:SCOPE_SE
	ds_load_b128 v[12:15], v42
	ds_load_b128 v[8:11], v42 offset:3888
	ds_load_b128 v[32:35], v42 offset:10368
	;; [unrolled: 1-line block ×5, first 2 shown]
	s_and_saveexec_b32 s1, s0
	s_cbranch_execz .LBB0_29
; %bb.28:
	ds_load_b128 v[4:7], v42 offset:7776
	ds_load_b128 v[0:3], v42 offset:18144
	;; [unrolled: 1-line block ×3, first 2 shown]
.LBB0_29:
	s_wait_alu 0xfffe
	s_or_b32 exec_lo, exec_lo, s1
	v_mul_lo_u16 v45, v40, 19
	v_mul_u32_u24_e32 v44, 0x2f69, v44
	v_mul_u32_u24_e32 v41, 0x2f69, v41
	s_mov_b32 s6, s2
	s_delay_alu instid0(VALU_DEP_3) | instskip(NEXT) | instid1(VALU_DEP_3)
	v_lshrrev_b16 v79, 9, v45
	v_lshrrev_b32_e32 v44, 16, v44
	s_delay_alu instid0(VALU_DEP_3) | instskip(NEXT) | instid1(VALU_DEP_3)
	v_lshrrev_b32_e32 v41, 16, v41
	v_mul_lo_u16 v45, v79, 27
	s_delay_alu instid0(VALU_DEP_2) | instskip(NEXT) | instid1(VALU_DEP_2)
	v_sub_nc_u16 v50, v37, v41
	v_sub_nc_u16 v45, v36, v45
	s_delay_alu instid0(VALU_DEP_2) | instskip(NEXT) | instid1(VALU_DEP_2)
	v_lshrrev_b16 v50, 1, v50
	v_and_b32_e32 v80, 0xff, v45
	v_sub_nc_u16 v45, v43, v44
	s_delay_alu instid0(VALU_DEP_3) | instskip(NEXT) | instid1(VALU_DEP_3)
	v_add_nc_u16 v41, v50, v41
	v_lshlrev_b32_e32 v49, 5, v80
	s_delay_alu instid0(VALU_DEP_3) | instskip(NEXT) | instid1(VALU_DEP_3)
	v_lshrrev_b16 v51, 1, v45
	v_lshrrev_b16 v41, 4, v41
	global_load_b128 v[45:48], v49, s[4:5] offset:384
	v_add_nc_u16 v44, v51, v44
	v_mul_lo_u16 v50, v41, 27
	s_delay_alu instid0(VALU_DEP_2) | instskip(NEXT) | instid1(VALU_DEP_2)
	v_lshrrev_b16 v81, 4, v44
	v_sub_nc_u16 v50, v37, v50
	s_delay_alu instid0(VALU_DEP_2) | instskip(NEXT) | instid1(VALU_DEP_1)
	v_mul_lo_u16 v44, v81, 27
	v_sub_nc_u16 v44, v43, v44
	s_delay_alu instid0(VALU_DEP_1) | instskip(NEXT) | instid1(VALU_DEP_4)
	v_and_b32_e32 v82, 0xffff, v44
	v_and_b32_e32 v44, 0xffff, v50
	global_load_b128 v[49:52], v49, s[4:5] offset:400
	v_lshlrev_b32_e32 v57, 5, v82
	v_lshlrev_b32_e32 v65, 5, v44
	s_clause 0x3
	global_load_b128 v[53:56], v57, s[4:5] offset:384
	global_load_b128 v[57:60], v57, s[4:5] offset:400
	;; [unrolled: 1-line block ×4, first 2 shown]
	global_wb scope:SCOPE_SE
	s_wait_loadcnt_dscnt 0x0
	s_barrier_signal -1
	s_barrier_wait -1
	global_inv scope:SCOPE_SE
	v_mul_f64_e32 v[69:70], v[34:35], v[47:48]
	v_mul_f64_e32 v[47:48], v[32:33], v[47:48]
	;; [unrolled: 1-line block ×10, first 2 shown]
	v_fma_f64 v[32:33], v[32:33], v[45:46], -v[69:70]
	v_fma_f64 v[34:35], v[34:35], v[45:46], v[47:48]
	v_mul_f64_e32 v[45:46], v[18:19], v[67:68]
	v_mul_f64_e32 v[47:48], v[16:17], v[67:68]
	v_fma_f64 v[28:29], v[28:29], v[49:50], -v[71:72]
	v_fma_f64 v[30:31], v[30:31], v[49:50], v[51:52]
	v_fma_f64 v[49:50], v[20:21], v[53:54], -v[73:74]
	v_fma_f64 v[51:52], v[22:23], v[53:54], v[55:56]
	;; [unrolled: 2-line block ×4, first 2 shown]
	v_add_f64_e32 v[57:58], v[12:13], v[32:33]
	v_fma_f64 v[16:17], v[16:17], v[65:66], -v[45:46]
	v_fma_f64 v[18:19], v[18:19], v[65:66], v[47:48]
	v_add_f64_e32 v[0:1], v[32:33], v[28:29]
	v_add_f64_e32 v[2:3], v[34:35], v[30:31]
	v_add_f64_e64 v[59:60], v[34:35], -v[30:31]
	v_add_f64_e32 v[34:35], v[14:15], v[34:35]
	v_add_f64_e64 v[61:62], v[32:33], -v[28:29]
	v_add_f64_e32 v[32:33], v[8:9], v[49:50]
	v_add_f64_e32 v[63:64], v[10:11], v[51:52]
	;; [unrolled: 1-line block ×4, first 2 shown]
	v_add_f64_e64 v[51:52], v[51:52], -v[55:56]
	v_add_f64_e64 v[65:66], v[49:50], -v[53:54]
	v_add_f64_e32 v[45:46], v[20:21], v[16:17]
	v_add_f64_e32 v[47:48], v[22:23], v[18:19]
	v_fma_f64 v[0:1], v[0:1], -0.5, v[12:13]
	v_fma_f64 v[2:3], v[2:3], -0.5, v[14:15]
	v_add_f64_e64 v[12:13], v[22:23], -v[18:19]
	v_add_f64_e64 v[14:15], v[20:21], -v[16:17]
	v_fma_f64 v[67:68], v[24:25], -0.5, v[8:9]
	v_fma_f64 v[69:70], v[26:27], -0.5, v[10:11]
	v_add_f64_e32 v[24:25], v[57:58], v[28:29]
	v_add_f64_e32 v[26:27], v[34:35], v[30:31]
	;; [unrolled: 1-line block ×4, first 2 shown]
	v_and_b32_e32 v57, 0xffff, v79
	v_and_b32_e32 v58, 0xffff, v81
	v_fma_f64 v[8:9], v[45:46], -0.5, v[4:5]
	v_fma_f64 v[10:11], v[47:48], -0.5, v[6:7]
	s_delay_alu instid0(VALU_DEP_4) | instskip(NEXT) | instid1(VALU_DEP_4)
	v_mul_u32_u24_e32 v57, 0x510, v57
	v_mul_u32_u24_e32 v58, 0x510, v58
	v_fma_f64 v[32:33], v[59:60], s[2:3], v[0:1]
	s_wait_alu 0xfffe
	v_fma_f64 v[45:46], v[59:60], s[6:7], v[0:1]
	v_fma_f64 v[34:35], v[61:62], s[6:7], v[2:3]
	;; [unrolled: 1-line block ×3, first 2 shown]
	v_lshlrev_b32_e32 v59, 4, v80
	v_lshlrev_b32_e32 v60, 4, v82
	v_fma_f64 v[49:50], v[51:52], s[2:3], v[67:68]
	v_fma_f64 v[53:54], v[51:52], s[6:7], v[67:68]
	;; [unrolled: 1-line block ×4, first 2 shown]
	v_add3_u32 v57, 0, v57, v59
	v_add3_u32 v58, 0, v58, v60
	ds_store_b128 v57, v[24:27]
	ds_store_b128 v57, v[32:35] offset:432
	ds_store_b128 v57, v[45:48] offset:864
	ds_store_b128 v58, v[28:31]
	ds_store_b128 v58, v[49:52] offset:432
	ds_store_b128 v58, v[53:56] offset:864
	v_fma_f64 v[0:1], v[12:13], s[6:7], v[8:9]
	v_fma_f64 v[2:3], v[14:15], s[2:3], v[10:11]
	s_and_saveexec_b32 s1, s0
	s_cbranch_execz .LBB0_31
; %bb.30:
	v_mul_f64_e32 v[14:15], s[2:3], v[14:15]
	v_add_f64_e32 v[22:23], v[6:7], v[22:23]
	v_add_f64_e32 v[4:5], v[4:5], v[20:21]
	v_mul_f64_e32 v[20:21], s[2:3], v[12:13]
	s_delay_alu instid0(VALU_DEP_4) | instskip(NEXT) | instid1(VALU_DEP_4)
	v_add_f64_e64 v[6:7], v[10:11], -v[14:15]
	v_add_f64_e32 v[12:13], v[22:23], v[18:19]
	s_delay_alu instid0(VALU_DEP_4) | instskip(NEXT) | instid1(VALU_DEP_4)
	v_add_f64_e32 v[10:11], v[4:5], v[16:17]
	v_add_f64_e32 v[4:5], v[20:21], v[8:9]
	v_mul_lo_u16 v8, 0x51, v41
	v_lshlrev_b32_e32 v9, 4, v44
	s_delay_alu instid0(VALU_DEP_2) | instskip(NEXT) | instid1(VALU_DEP_1)
	v_and_b32_e32 v8, 0xffff, v8
	v_lshlrev_b32_e32 v8, 4, v8
	s_delay_alu instid0(VALU_DEP_1)
	v_add3_u32 v8, 0, v9, v8
	ds_store_b128 v8, v[10:13]
	ds_store_b128 v8, v[4:7] offset:432
	ds_store_b128 v8, v[0:3] offset:864
.LBB0_31:
	s_wait_alu 0xfffe
	s_or_b32 exec_lo, exec_lo, s1
	v_mul_lo_u16 v4, 0xcb, v40
	global_wb scope:SCOPE_SE
	s_wait_dscnt 0x0
	s_barrier_signal -1
	s_barrier_wait -1
	global_inv scope:SCOPE_SE
	v_lshrrev_b16 v80, 14, v4
	s_mov_b32 s2, 0x667f3bcd
	s_mov_b32 s3, 0xbfe6a09e
	;; [unrolled: 1-line block ×3, first 2 shown]
	s_wait_alu 0xfffe
	s_mov_b32 s6, s2
	v_mul_lo_u16 v4, 0x51, v80
	s_delay_alu instid0(VALU_DEP_1) | instskip(NEXT) | instid1(VALU_DEP_1)
	v_sub_nc_u16 v4, v36, v4
	v_and_b32_e32 v81, 0xff, v4
	s_delay_alu instid0(VALU_DEP_1) | instskip(NEXT) | instid1(VALU_DEP_1)
	v_mul_u32_u24_e32 v4, 7, v81
	v_lshlrev_b32_e32 v28, 4, v4
	s_clause 0x6
	global_load_b128 v[4:7], v28, s[4:5] offset:1248
	global_load_b128 v[8:11], v28, s[4:5] offset:1264
	;; [unrolled: 1-line block ×7, first 2 shown]
	ds_load_b128 v[32:35], v42 offset:3888
	ds_load_b128 v[44:47], v42 offset:7776
	;; [unrolled: 1-line block ×7, first 2 shown]
	s_wait_loadcnt_dscnt 0x606
	v_mul_f64_e32 v[40:41], v[34:35], v[6:7]
	v_mul_f64_e32 v[6:7], v[32:33], v[6:7]
	s_wait_loadcnt_dscnt 0x505
	v_mul_f64_e32 v[68:69], v[46:47], v[10:11]
	v_mul_f64_e32 v[10:11], v[44:45], v[10:11]
	;; [unrolled: 3-line block ×7, first 2 shown]
	v_fma_f64 v[32:33], v[32:33], v[4:5], -v[40:41]
	v_fma_f64 v[34:35], v[34:35], v[4:5], v[6:7]
	v_fma_f64 v[40:41], v[44:45], v[8:9], -v[68:69]
	v_fma_f64 v[8:9], v[46:47], v[8:9], v[10:11]
	;; [unrolled: 2-line block ×7, first 2 shown]
	ds_load_b128 v[4:7], v42
	global_wb scope:SCOPE_SE
	s_wait_dscnt 0x0
	s_barrier_signal -1
	s_barrier_wait -1
	global_inv scope:SCOPE_SE
	v_add_f64_e64 v[10:11], v[4:5], -v[10:11]
	v_add_f64_e64 v[12:13], v[6:7], -v[12:13]
	;; [unrolled: 1-line block ×8, first 2 shown]
	v_fma_f64 v[4:5], v[4:5], 2.0, -v[10:11]
	v_fma_f64 v[6:7], v[6:7], 2.0, -v[12:13]
	;; [unrolled: 1-line block ×6, first 2 shown]
	v_add_f64_e64 v[40:41], v[10:11], -v[16:17]
	v_add_f64_e32 v[44:45], v[12:13], v[14:15]
	v_fma_f64 v[14:15], v[22:23], 2.0, -v[26:27]
	v_fma_f64 v[16:17], v[24:25], 2.0, -v[28:29]
	v_add_f64_e64 v[22:23], v[18:19], -v[28:29]
	v_add_f64_e32 v[24:25], v[20:21], v[26:27]
	v_add_f64_e64 v[26:27], v[4:5], -v[30:31]
	v_add_f64_e64 v[28:29], v[6:7], -v[8:9]
	v_fma_f64 v[46:47], v[10:11], 2.0, -v[40:41]
	v_fma_f64 v[48:49], v[12:13], 2.0, -v[44:45]
	v_add_f64_e64 v[8:9], v[32:33], -v[14:15]
	v_add_f64_e64 v[10:11], v[34:35], -v[16:17]
	v_fma_f64 v[18:19], v[18:19], 2.0, -v[22:23]
	v_fma_f64 v[16:17], v[20:21], 2.0, -v[24:25]
	s_wait_alu 0xfffe
	v_fma_f64 v[12:13], v[22:23], s[6:7], v[40:41]
	v_fma_f64 v[14:15], v[24:25], s[6:7], v[44:45]
	v_fma_f64 v[30:31], v[4:5], 2.0, -v[26:27]
	v_fma_f64 v[50:51], v[6:7], 2.0, -v[28:29]
	;; [unrolled: 1-line block ×4, first 2 shown]
	v_fma_f64 v[34:35], v[18:19], s[2:3], v[46:47]
	v_fma_f64 v[52:53], v[16:17], s[2:3], v[48:49]
	v_add_f64_e64 v[4:5], v[26:27], -v[10:11]
	v_add_f64_e32 v[6:7], v[28:29], v[8:9]
	v_fma_f64 v[8:9], v[24:25], s[2:3], v[12:13]
	v_fma_f64 v[10:11], v[22:23], s[6:7], v[14:15]
	v_add_f64_e64 v[12:13], v[30:31], -v[20:21]
	v_add_f64_e64 v[14:15], v[50:51], -v[32:33]
	v_fma_f64 v[16:17], v[16:17], s[2:3], v[34:35]
	v_fma_f64 v[18:19], v[18:19], s[6:7], v[52:53]
	v_fma_f64 v[20:21], v[26:27], 2.0, -v[4:5]
	v_fma_f64 v[22:23], v[28:29], 2.0, -v[6:7]
	;; [unrolled: 1-line block ×4, first 2 shown]
	v_and_b32_e32 v40, 0xffff, v80
	v_lshlrev_b32_e32 v41, 4, v81
	s_delay_alu instid0(VALU_DEP_2) | instskip(NEXT) | instid1(VALU_DEP_1)
	v_mul_u32_u24_e32 v40, 0x2880, v40
	v_add3_u32 v40, 0, v40, v41
	v_fma_f64 v[28:29], v[30:31], 2.0, -v[12:13]
	v_fma_f64 v[30:31], v[50:51], 2.0, -v[14:15]
	;; [unrolled: 1-line block ×4, first 2 shown]
	ds_store_b128 v40, v[4:7] offset:7776
	ds_store_b128 v40, v[8:11] offset:9072
	;; [unrolled: 1-line block ×6, first 2 shown]
	ds_store_b128 v40, v[28:31]
	ds_store_b128 v40, v[32:35] offset:1296
	global_wb scope:SCOPE_SE
	s_wait_dscnt 0x0
	s_barrier_signal -1
	s_barrier_wait -1
	global_inv scope:SCOPE_SE
	ds_load_b128 v[16:19], v42
	ds_load_b128 v[12:15], v42 offset:3888
	ds_load_b128 v[28:31], v42 offset:10368
	;; [unrolled: 1-line block ×5, first 2 shown]
	s_and_saveexec_b32 s1, s0
	s_cbranch_execz .LBB0_33
; %bb.32:
	ds_load_b128 v[4:7], v42 offset:7776
	ds_load_b128 v[8:11], v42 offset:18144
	;; [unrolled: 1-line block ×3, first 2 shown]
.LBB0_33:
	s_wait_alu 0xfffe
	s_or_b32 exec_lo, exec_lo, s1
	v_dual_mov_b32 v41, 0 :: v_dual_lshlrev_b32 v40, 1, v36
	s_mov_b32 s2, 0xe8584caa
	s_mov_b32 s3, 0x3febb67a
	;; [unrolled: 1-line block ×3, first 2 shown]
	s_wait_alu 0xfffe
	s_mov_b32 s6, s2
	v_lshlrev_b64_e32 v[44:45], 4, v[40:41]
	v_lshlrev_b32_e32 v40, 1, v43
	s_delay_alu instid0(VALU_DEP_1) | instskip(NEXT) | instid1(VALU_DEP_3)
	v_lshlrev_b64_e32 v[46:47], 4, v[40:41]
	v_add_co_u32 v48, s1, s4, v44
	s_wait_alu 0xf1ff
	s_delay_alu instid0(VALU_DEP_4) | instskip(NEXT) | instid1(VALU_DEP_3)
	v_add_co_ci_u32_e64 v49, s1, s5, v45, s1
	v_add_co_u32 v55, s1, s4, v46
	s_wait_alu 0xf1ff
	v_add_co_ci_u32_e64 v56, s1, s5, v47, s1
	s_clause 0x3
	global_load_b128 v[43:46], v[48:49], off offset:10320
	global_load_b128 v[47:50], v[48:49], off offset:10336
	;; [unrolled: 1-line block ×4, first 2 shown]
	global_wb scope:SCOPE_SE
	s_wait_loadcnt_dscnt 0x0
	s_barrier_signal -1
	s_barrier_wait -1
	global_inv scope:SCOPE_SE
	v_mul_f64_e32 v[59:60], v[30:31], v[45:46]
	v_mul_f64_e32 v[45:46], v[28:29], v[45:46]
	;; [unrolled: 1-line block ×8, first 2 shown]
	v_fma_f64 v[28:29], v[28:29], v[43:44], -v[59:60]
	v_fma_f64 v[30:31], v[30:31], v[43:44], v[45:46]
	v_fma_f64 v[32:33], v[32:33], v[47:48], -v[61:62]
	v_fma_f64 v[34:35], v[34:35], v[47:48], v[49:50]
	v_fma_f64 v[20:21], v[20:21], v[51:52], -v[63:64]
	v_fma_f64 v[22:23], v[22:23], v[51:52], v[53:54]
	v_fma_f64 v[24:25], v[24:25], v[55:56], -v[65:66]
	v_fma_f64 v[26:27], v[26:27], v[55:56], v[57:58]
	v_add_f64_e32 v[51:52], v[16:17], v[28:29]
	v_add_f64_e32 v[43:44], v[28:29], v[32:33]
	;; [unrolled: 1-line block ×3, first 2 shown]
	v_add_f64_e64 v[53:54], v[30:31], -v[34:35]
	v_add_f64_e32 v[30:31], v[18:19], v[30:31]
	v_add_f64_e32 v[47:48], v[20:21], v[24:25]
	;; [unrolled: 1-line block ×5, first 2 shown]
	v_add_f64_e64 v[28:29], v[28:29], -v[32:33]
	v_add_f64_e64 v[59:60], v[22:23], -v[26:27]
	;; [unrolled: 1-line block ×3, first 2 shown]
	v_fma_f64 v[43:44], v[43:44], -0.5, v[16:17]
	v_fma_f64 v[45:46], v[45:46], -0.5, v[18:19]
	;; [unrolled: 1-line block ×4, first 2 shown]
	v_add_f64_e32 v[12:13], v[51:52], v[32:33]
	v_add_f64_e32 v[14:15], v[30:31], v[34:35]
	;; [unrolled: 1-line block ×4, first 2 shown]
	v_fma_f64 v[20:21], v[53:54], s[2:3], v[43:44]
	s_wait_alu 0xfffe
	v_fma_f64 v[22:23], v[28:29], s[6:7], v[45:46]
	v_fma_f64 v[26:27], v[28:29], s[2:3], v[45:46]
	;; [unrolled: 1-line block ×7, first 2 shown]
	ds_store_b128 v42, v[12:15]
	ds_store_b128 v42, v[16:19] offset:3888
	ds_store_b128 v42, v[20:23] offset:10368
	;; [unrolled: 1-line block ×5, first 2 shown]
	s_and_saveexec_b32 s1, s0
	s_cbranch_execz .LBB0_35
; %bb.34:
	v_add_nc_u32_e32 v12, 0xffffff5e, v36
	s_delay_alu instid0(VALU_DEP_1) | instskip(NEXT) | instid1(VALU_DEP_1)
	v_cndmask_b32_e64 v12, v12, v37, s0
	v_lshlrev_b32_e32 v40, 1, v12
	s_delay_alu instid0(VALU_DEP_1) | instskip(NEXT) | instid1(VALU_DEP_1)
	v_lshlrev_b64_e32 v[12:13], 4, v[40:41]
	v_add_co_u32 v16, s0, s4, v12
	s_wait_alu 0xf1ff
	s_delay_alu instid0(VALU_DEP_2)
	v_add_co_ci_u32_e64 v17, s0, s5, v13, s0
	s_clause 0x1
	global_load_b128 v[12:15], v[16:17], off offset:10320
	global_load_b128 v[16:19], v[16:17], off offset:10336
	s_wait_loadcnt 0x1
	v_mul_f64_e32 v[20:21], v[8:9], v[14:15]
	s_wait_loadcnt 0x0
	v_mul_f64_e32 v[22:23], v[0:1], v[18:19]
	v_mul_f64_e32 v[14:15], v[10:11], v[14:15]
	;; [unrolled: 1-line block ×3, first 2 shown]
	s_delay_alu instid0(VALU_DEP_4) | instskip(NEXT) | instid1(VALU_DEP_4)
	v_fma_f64 v[10:11], v[10:11], v[12:13], v[20:21]
	v_fma_f64 v[2:3], v[2:3], v[16:17], v[22:23]
	s_delay_alu instid0(VALU_DEP_4) | instskip(NEXT) | instid1(VALU_DEP_4)
	v_fma_f64 v[8:9], v[8:9], v[12:13], -v[14:15]
	v_fma_f64 v[0:1], v[0:1], v[16:17], -v[18:19]
	s_delay_alu instid0(VALU_DEP_4) | instskip(NEXT) | instid1(VALU_DEP_4)
	v_add_f64_e32 v[18:19], v[6:7], v[10:11]
	v_add_f64_e32 v[12:13], v[10:11], v[2:3]
	v_add_f64_e64 v[20:21], v[10:11], -v[2:3]
	s_delay_alu instid0(VALU_DEP_4)
	v_add_f64_e32 v[14:15], v[8:9], v[0:1]
	v_add_f64_e64 v[16:17], v[8:9], -v[0:1]
	v_add_f64_e32 v[8:9], v[4:5], v[8:9]
	v_add_f64_e32 v[2:3], v[18:19], v[2:3]
	v_fma_f64 v[12:13], v[12:13], -0.5, v[6:7]
	v_fma_f64 v[4:5], v[14:15], -0.5, v[4:5]
	s_delay_alu instid0(VALU_DEP_4) | instskip(NEXT) | instid1(VALU_DEP_3)
	v_add_f64_e32 v[0:1], v[8:9], v[0:1]
	v_fma_f64 v[10:11], v[16:17], s[6:7], v[12:13]
	v_fma_f64 v[6:7], v[16:17], s[2:3], v[12:13]
	s_delay_alu instid0(VALU_DEP_4)
	v_fma_f64 v[8:9], v[20:21], s[2:3], v[4:5]
	v_fma_f64 v[4:5], v[20:21], s[6:7], v[4:5]
	ds_store_b128 v42, v[0:3] offset:7776
	ds_store_b128 v42, v[8:11] offset:18144
	;; [unrolled: 1-line block ×3, first 2 shown]
.LBB0_35:
	s_wait_alu 0xfffe
	s_or_b32 exec_lo, exec_lo, s1
	global_wb scope:SCOPE_SE
	s_wait_dscnt 0x0
	s_barrier_signal -1
	s_barrier_wait -1
	global_inv scope:SCOPE_SE
	s_and_saveexec_b32 s0, vcc_lo
	s_cbranch_execz .LBB0_37
; %bb.36:
	v_lshl_add_u32 v20, v36, 4, 0
	v_dual_mov_b32 v37, 0 :: v_dual_add_nc_u32 v8, 0xf3, v36
	v_add_co_u32 v38, vcc_lo, s8, v38
	ds_load_b128 v[0:3], v20
	ds_load_b128 v[4:7], v20 offset:3888
	v_dual_mov_b32 v9, v37 :: v_dual_add_nc_u32 v12, 0x1e6, v36
	v_lshlrev_b64_e32 v[10:11], 4, v[36:37]
	s_wait_alu 0xfffd
	v_add_co_ci_u32_e32 v39, vcc_lo, s9, v39, vcc_lo
	s_delay_alu instid0(VALU_DEP_3) | instskip(SKIP_1) | instid1(VALU_DEP_4)
	v_lshlrev_b64_e32 v[8:9], 4, v[8:9]
	v_dual_mov_b32 v13, v37 :: v_dual_add_nc_u32 v14, 0x2d9, v36
	v_add_co_u32 v10, vcc_lo, v38, v10
	s_wait_alu 0xfffd
	v_add_co_ci_u32_e32 v11, vcc_lo, v39, v11, vcc_lo
	s_delay_alu instid0(VALU_DEP_4)
	v_add_co_u32 v8, vcc_lo, v38, v8
	v_mov_b32_e32 v15, v37
	s_wait_alu 0xfffd
	v_add_co_ci_u32_e32 v9, vcc_lo, v39, v9, vcc_lo
	v_lshlrev_b64_e32 v[12:13], 4, v[12:13]
	v_dual_mov_b32 v17, v37 :: v_dual_add_nc_u32 v18, 0x5b2, v36
	s_wait_dscnt 0x1
	global_store_b128 v[10:11], v[0:3], off
	s_wait_dscnt 0x0
	global_store_b128 v[8:9], v[4:7], off
	v_add_nc_u32_e32 v10, 0x3cc, v36
	v_lshlrev_b64_e32 v[8:9], 4, v[14:15]
	v_add_co_u32 v24, vcc_lo, v38, v12
	v_dual_mov_b32 v11, v37 :: v_dual_add_nc_u32 v16, 0x4bf, v36
	s_wait_alu 0xfffd
	v_add_co_ci_u32_e32 v25, vcc_lo, v39, v13, vcc_lo
	s_delay_alu instid0(VALU_DEP_4)
	v_add_co_u32 v26, vcc_lo, v38, v8
	s_wait_alu 0xfffd
	v_add_co_ci_u32_e32 v27, vcc_lo, v39, v9, vcc_lo
	v_lshlrev_b64_e32 v[8:9], 4, v[10:11]
	v_dual_mov_b32 v19, v37 :: v_dual_add_nc_u32 v36, 0x6a5, v36
	ds_load_b128 v[0:3], v20 offset:7776
	ds_load_b128 v[4:7], v20 offset:11664
	v_lshlrev_b64_e32 v[30:31], 4, v[16:17]
	v_add_co_u32 v28, vcc_lo, v38, v8
	s_wait_alu 0xfffd
	v_add_co_ci_u32_e32 v29, vcc_lo, v39, v9, vcc_lo
	ds_load_b128 v[8:11], v20 offset:15552
	ds_load_b128 v[12:15], v20 offset:19440
	v_lshlrev_b64_e32 v[32:33], 4, v[18:19]
	ds_load_b128 v[16:19], v20 offset:23328
	ds_load_b128 v[20:23], v20 offset:27216
	v_add_co_u32 v30, vcc_lo, v38, v30
	v_lshlrev_b64_e32 v[34:35], 4, v[36:37]
	s_wait_alu 0xfffd
	v_add_co_ci_u32_e32 v31, vcc_lo, v39, v31, vcc_lo
	v_add_co_u32 v32, vcc_lo, v38, v32
	s_wait_alu 0xfffd
	v_add_co_ci_u32_e32 v33, vcc_lo, v39, v33, vcc_lo
	v_add_co_u32 v34, vcc_lo, v38, v34
	s_wait_alu 0xfffd
	v_add_co_ci_u32_e32 v35, vcc_lo, v39, v35, vcc_lo
	s_wait_dscnt 0x5
	global_store_b128 v[24:25], v[0:3], off
	s_wait_dscnt 0x4
	global_store_b128 v[26:27], v[4:7], off
	;; [unrolled: 2-line block ×6, first 2 shown]
.LBB0_37:
	s_nop 0
	s_sendmsg sendmsg(MSG_DEALLOC_VGPRS)
	s_endpgm
	.section	.rodata,"a",@progbits
	.p2align	6, 0x0
	.amdhsa_kernel fft_rtc_fwd_len1944_factors_3_3_3_3_8_3_wgs_243_tpt_243_halfLds_dp_ip_CI_unitstride_sbrr_C2R_dirReg
		.amdhsa_group_segment_fixed_size 0
		.amdhsa_private_segment_fixed_size 0
		.amdhsa_kernarg_size 88
		.amdhsa_user_sgpr_count 2
		.amdhsa_user_sgpr_dispatch_ptr 0
		.amdhsa_user_sgpr_queue_ptr 0
		.amdhsa_user_sgpr_kernarg_segment_ptr 1
		.amdhsa_user_sgpr_dispatch_id 0
		.amdhsa_user_sgpr_private_segment_size 0
		.amdhsa_wavefront_size32 1
		.amdhsa_uses_dynamic_stack 0
		.amdhsa_enable_private_segment 0
		.amdhsa_system_sgpr_workgroup_id_x 1
		.amdhsa_system_sgpr_workgroup_id_y 0
		.amdhsa_system_sgpr_workgroup_id_z 0
		.amdhsa_system_sgpr_workgroup_info 0
		.amdhsa_system_vgpr_workitem_id 0
		.amdhsa_next_free_vgpr 85
		.amdhsa_next_free_sgpr 32
		.amdhsa_reserve_vcc 1
		.amdhsa_float_round_mode_32 0
		.amdhsa_float_round_mode_16_64 0
		.amdhsa_float_denorm_mode_32 3
		.amdhsa_float_denorm_mode_16_64 3
		.amdhsa_fp16_overflow 0
		.amdhsa_workgroup_processor_mode 1
		.amdhsa_memory_ordered 1
		.amdhsa_forward_progress 0
		.amdhsa_round_robin_scheduling 0
		.amdhsa_exception_fp_ieee_invalid_op 0
		.amdhsa_exception_fp_denorm_src 0
		.amdhsa_exception_fp_ieee_div_zero 0
		.amdhsa_exception_fp_ieee_overflow 0
		.amdhsa_exception_fp_ieee_underflow 0
		.amdhsa_exception_fp_ieee_inexact 0
		.amdhsa_exception_int_div_zero 0
	.end_amdhsa_kernel
	.text
.Lfunc_end0:
	.size	fft_rtc_fwd_len1944_factors_3_3_3_3_8_3_wgs_243_tpt_243_halfLds_dp_ip_CI_unitstride_sbrr_C2R_dirReg, .Lfunc_end0-fft_rtc_fwd_len1944_factors_3_3_3_3_8_3_wgs_243_tpt_243_halfLds_dp_ip_CI_unitstride_sbrr_C2R_dirReg
                                        ; -- End function
	.section	.AMDGPU.csdata,"",@progbits
; Kernel info:
; codeLenInByte = 8640
; NumSgprs: 34
; NumVgprs: 85
; ScratchSize: 0
; MemoryBound: 0
; FloatMode: 240
; IeeeMode: 1
; LDSByteSize: 0 bytes/workgroup (compile time only)
; SGPRBlocks: 4
; VGPRBlocks: 10
; NumSGPRsForWavesPerEU: 34
; NumVGPRsForWavesPerEU: 85
; Occupancy: 16
; WaveLimiterHint : 1
; COMPUTE_PGM_RSRC2:SCRATCH_EN: 0
; COMPUTE_PGM_RSRC2:USER_SGPR: 2
; COMPUTE_PGM_RSRC2:TRAP_HANDLER: 0
; COMPUTE_PGM_RSRC2:TGID_X_EN: 1
; COMPUTE_PGM_RSRC2:TGID_Y_EN: 0
; COMPUTE_PGM_RSRC2:TGID_Z_EN: 0
; COMPUTE_PGM_RSRC2:TIDIG_COMP_CNT: 0
	.text
	.p2alignl 7, 3214868480
	.fill 96, 4, 3214868480
	.type	__hip_cuid_8f99efeae5c926b9,@object ; @__hip_cuid_8f99efeae5c926b9
	.section	.bss,"aw",@nobits
	.globl	__hip_cuid_8f99efeae5c926b9
__hip_cuid_8f99efeae5c926b9:
	.byte	0                               ; 0x0
	.size	__hip_cuid_8f99efeae5c926b9, 1

	.ident	"AMD clang version 19.0.0git (https://github.com/RadeonOpenCompute/llvm-project roc-6.4.0 25133 c7fe45cf4b819c5991fe208aaa96edf142730f1d)"
	.section	".note.GNU-stack","",@progbits
	.addrsig
	.addrsig_sym __hip_cuid_8f99efeae5c926b9
	.amdgpu_metadata
---
amdhsa.kernels:
  - .args:
      - .actual_access:  read_only
        .address_space:  global
        .offset:         0
        .size:           8
        .value_kind:     global_buffer
      - .offset:         8
        .size:           8
        .value_kind:     by_value
      - .actual_access:  read_only
        .address_space:  global
        .offset:         16
        .size:           8
        .value_kind:     global_buffer
      - .actual_access:  read_only
        .address_space:  global
        .offset:         24
        .size:           8
        .value_kind:     global_buffer
      - .offset:         32
        .size:           8
        .value_kind:     by_value
      - .actual_access:  read_only
        .address_space:  global
        .offset:         40
        .size:           8
        .value_kind:     global_buffer
      - .actual_access:  read_only
        .address_space:  global
        .offset:         48
        .size:           8
        .value_kind:     global_buffer
      - .offset:         56
        .size:           4
        .value_kind:     by_value
      - .actual_access:  read_only
        .address_space:  global
        .offset:         64
        .size:           8
        .value_kind:     global_buffer
      - .actual_access:  read_only
        .address_space:  global
        .offset:         72
        .size:           8
        .value_kind:     global_buffer
      - .address_space:  global
        .offset:         80
        .size:           8
        .value_kind:     global_buffer
    .group_segment_fixed_size: 0
    .kernarg_segment_align: 8
    .kernarg_segment_size: 88
    .language:       OpenCL C
    .language_version:
      - 2
      - 0
    .max_flat_workgroup_size: 243
    .name:           fft_rtc_fwd_len1944_factors_3_3_3_3_8_3_wgs_243_tpt_243_halfLds_dp_ip_CI_unitstride_sbrr_C2R_dirReg
    .private_segment_fixed_size: 0
    .sgpr_count:     34
    .sgpr_spill_count: 0
    .symbol:         fft_rtc_fwd_len1944_factors_3_3_3_3_8_3_wgs_243_tpt_243_halfLds_dp_ip_CI_unitstride_sbrr_C2R_dirReg.kd
    .uniform_work_group_size: 1
    .uses_dynamic_stack: false
    .vgpr_count:     85
    .vgpr_spill_count: 0
    .wavefront_size: 32
    .workgroup_processor_mode: 1
amdhsa.target:   amdgcn-amd-amdhsa--gfx1201
amdhsa.version:
  - 1
  - 2
...

	.end_amdgpu_metadata
